;; amdgpu-corpus repo=zjin-lcf/HeCBench kind=compiled arch=gfx906 opt=O3
	.amdgcn_target "amdgcn-amd-amdhsa--gfx906"
	.amdhsa_code_object_version 6
	.text
	.protected	_Z11bucketcountPKfPiPjS0_i ; -- Begin function _Z11bucketcountPKfPiPjS0_i
	.globl	_Z11bucketcountPKfPiPjS0_i
	.p2align	8
	.type	_Z11bucketcountPKfPiPjS0_i,@function
_Z11bucketcountPKfPiPjS0_i:             ; @_Z11bucketcountPKfPiPjS0_i
; %bb.0:
	s_load_dword s0, s[4:5], 0x34
	s_load_dword s16, s[4:5], 0x28
	v_lshlrev_b32_e32 v6, 2, v0
	v_mov_b32_e32 v1, 0
	s_movk_i32 s2, 0x3ff
	s_waitcnt lgkmcnt(0)
	s_and_b32 s7, s0, 0xffff
	s_lshl_b32 s20, s7, 2
	s_mov_b64 s[0:1], 0
	v_mov_b32_e32 v2, v6
	v_mov_b32_e32 v3, v0
.LBB0_1:                                ; =>This Inner Loop Header: Depth=1
	v_add_u32_e32 v3, s7, v3
	v_cmp_lt_u32_e32 vcc, s2, v3
	ds_write_b32 v2, v1
	s_or_b64 s[0:1], vcc, s[0:1]
	v_add_u32_e32 v2, s20, v2
	s_andn2_b64 exec, exec, s[0:1]
	s_cbranch_execnz .LBB0_1
; %bb.2:
	s_or_b64 exec, exec, s[0:1]
	s_load_dwordx8 s[8:15], s[4:5], 0x0
	s_load_dword s21, s[4:5], 0x20
	s_mul_i32 s0, s6, s7
	v_add_u32_e32 v1, s0, v0
	s_waitcnt lgkmcnt(0)
	s_barrier
	v_cmp_gt_i32_e32 vcc, s21, v1
	s_and_saveexec_b64 s[2:3], vcc
	s_cbranch_execz .LBB0_5
; %bb.3:
	s_load_dword s22, s[14:15], 0x7fc
	s_mul_i32 s4, s16, s7
	v_lshlrev_b32_e32 v2, 7, v0
	v_and_b32_e32 v7, 0x1f000, v2
	v_ashrrev_i32_e32 v2, 31, v1
	s_ashr_i32 s5, s4, 31
	v_lshlrev_b64 v[2:3], 2, v[1:2]
	s_lshl_b64 s[16:17], s[4:5], 2
	s_mov_b64 s[18:19], 0
	v_mov_b32_e32 v8, s9
	v_mov_b32_e32 v9, 0x2ff
	;; [unrolled: 1-line block ×7, first 2 shown]
	v_not_b32_e32 v14, 63
	v_not_b32_e32 v15, 31
	v_mov_b32_e32 v16, 1
	v_mov_b32_e32 v17, s11
	;; [unrolled: 1-line block ×3, first 2 shown]
.LBB0_4:                                ; =>This Inner Loop Header: Depth=1
	v_add_co_u32_e32 v19, vcc, s8, v2
	v_addc_co_u32_e32 v20, vcc, v8, v3, vcc
	global_load_dword v21, v[19:20], off
	v_add_u32_e32 v1, s4, v1
	s_waitcnt vmcnt(0) lgkmcnt(0)
	v_cmp_gt_f32_e32 vcc, s22, v21
	v_cndmask_b32_e32 v4, v9, v10, vcc
	v_lshlrev_b32_e32 v19, 2, v4
	global_load_dword v19, v19, s[14:15]
	s_waitcnt vmcnt(0)
	v_cmp_lt_f32_e32 vcc, v21, v19
	v_cndmask_b32_e32 v19, v11, v12, vcc
	v_add_u32_e32 v4, v19, v4
	v_lshlrev_b64 v[19:20], 2, v[4:5]
	v_add_co_u32_e32 v19, vcc, s14, v19
	v_addc_co_u32_e32 v20, vcc, v13, v20, vcc
	global_load_dword v19, v[19:20], off
	s_waitcnt vmcnt(0)
	v_cmp_lt_f32_e32 vcc, v21, v19
	v_cndmask_b32_e32 v19, 64, v14, vcc
	v_add_u32_e32 v4, v19, v4
	v_lshlrev_b64 v[19:20], 2, v[4:5]
	v_add_co_u32_e32 v19, vcc, s14, v19
	v_addc_co_u32_e32 v20, vcc, v13, v20, vcc
	global_load_dword v19, v[19:20], off
	s_waitcnt vmcnt(0)
	v_cmp_lt_f32_e32 vcc, v21, v19
	v_cndmask_b32_e32 v19, 32, v15, vcc
	v_add_u32_e32 v4, v19, v4
	v_lshlrev_b64 v[19:20], 2, v[4:5]
	v_add_co_u32_e32 v19, vcc, s14, v19
	v_addc_co_u32_e32 v20, vcc, v13, v20, vcc
	global_load_dword v19, v[19:20], off
	s_waitcnt vmcnt(0)
	v_cmp_lt_f32_e32 vcc, v21, v19
	v_cndmask_b32_e64 v19, 16, -16, vcc
	v_add_u32_e32 v4, v19, v4
	v_lshlrev_b64 v[19:20], 2, v[4:5]
	v_add_co_u32_e32 v19, vcc, s14, v19
	v_addc_co_u32_e32 v20, vcc, v13, v20, vcc
	global_load_dword v19, v[19:20], off
	s_waitcnt vmcnt(0)
	v_cmp_lt_f32_e32 vcc, v21, v19
	v_cndmask_b32_e64 v19, 8, -8, vcc
	v_add_u32_e32 v4, v19, v4
	v_lshlrev_b64 v[19:20], 2, v[4:5]
	v_add_co_u32_e32 v19, vcc, s14, v19
	v_addc_co_u32_e32 v20, vcc, v13, v20, vcc
	global_load_dword v19, v[19:20], off
	;; [unrolled: 8-line block ×4, first 2 shown]
	v_mov_b32_e32 v20, v5
	s_waitcnt vmcnt(0)
	v_cmp_lt_f32_e32 vcc, v21, v19
	v_cndmask_b32_e64 v22, 1, -1, vcc
	v_add_u32_e32 v19, v22, v4
	v_lshlrev_b64 v[19:20], 2, v[19:20]
	v_add_co_u32_e32 v19, vcc, s14, v19
	v_addc_co_u32_e32 v20, vcc, v13, v20, vcc
	global_load_dword v23, v[19:20], off
	v_add_co_u32_e32 v19, vcc, s10, v2
	v_addc_co_u32_e32 v20, vcc, v17, v3, vcc
	v_add_co_u32_e32 v2, vcc, s16, v2
	v_addc_co_u32_e32 v3, vcc, v3, v18, vcc
	v_cmp_le_i32_e32 vcc, s21, v1
	s_or_b64 s[18:19], vcc, s[18:19]
	s_waitcnt vmcnt(0)
	v_cmp_nlt_f32_e64 s[0:1], v21, v23
	v_addc_co_u32_e64 v4, s[0:1], v22, v4, s[0:1]
	v_lshl_add_u32 v21, v4, 2, v7
	ds_add_rtn_u32 v21, v21, v16
	s_waitcnt lgkmcnt(0)
	v_lshl_add_u32 v4, v21, 10, v4
	global_store_dword v[19:20], v4, off
	s_andn2_b64 exec, exec, s[18:19]
	s_cbranch_execnz .LBB0_4
.LBB0_5:
	s_or_b64 exec, exec, s[2:3]
	v_lshl_or_b32 v1, s6, 10, v0
	v_ashrrev_i32_e32 v2, 31, v1
	v_lshlrev_b64 v[1:2], 2, v[1:2]
	v_mov_b32_e32 v3, s13
	v_add_co_u32_e32 v1, vcc, s12, v1
	v_addc_co_u32_e32 v2, vcc, v3, v2, vcc
	s_mov_b64 s[0:1], 0
	s_movk_i32 s2, 0x3ff
	s_waitcnt vmcnt(0)
	s_barrier
.LBB0_6:                                ; =>This Inner Loop Header: Depth=1
	ds_read_b32 v3, v6
	v_add_u32_e32 v0, s7, v0
	v_cmp_lt_u32_e32 vcc, s2, v0
	s_or_b64 s[0:1], vcc, s[0:1]
	v_add_u32_e32 v6, s20, v6
	s_waitcnt lgkmcnt(0)
	v_and_b32_e32 v3, 0x7ffffff, v3
	global_store_dword v[1:2], v3, off
	v_add_co_u32_e32 v1, vcc, s20, v1
	v_addc_co_u32_e32 v2, vcc, 0, v2, vcc
	s_andn2_b64 exec, exec, s[0:1]
	s_cbranch_execnz .LBB0_6
; %bb.7:
	s_endpgm
	.section	.rodata,"a",@progbits
	.p2align	6, 0x0
	.amdhsa_kernel _Z11bucketcountPKfPiPjS0_i
		.amdhsa_group_segment_fixed_size 4096
		.amdhsa_private_segment_fixed_size 0
		.amdhsa_kernarg_size 296
		.amdhsa_user_sgpr_count 6
		.amdhsa_user_sgpr_private_segment_buffer 1
		.amdhsa_user_sgpr_dispatch_ptr 0
		.amdhsa_user_sgpr_queue_ptr 0
		.amdhsa_user_sgpr_kernarg_segment_ptr 1
		.amdhsa_user_sgpr_dispatch_id 0
		.amdhsa_user_sgpr_flat_scratch_init 0
		.amdhsa_user_sgpr_private_segment_size 0
		.amdhsa_uses_dynamic_stack 0
		.amdhsa_system_sgpr_private_segment_wavefront_offset 0
		.amdhsa_system_sgpr_workgroup_id_x 1
		.amdhsa_system_sgpr_workgroup_id_y 0
		.amdhsa_system_sgpr_workgroup_id_z 0
		.amdhsa_system_sgpr_workgroup_info 0
		.amdhsa_system_vgpr_workitem_id 0
		.amdhsa_next_free_vgpr 29
		.amdhsa_next_free_sgpr 61
		.amdhsa_reserve_vcc 1
		.amdhsa_reserve_flat_scratch 0
		.amdhsa_float_round_mode_32 0
		.amdhsa_float_round_mode_16_64 0
		.amdhsa_float_denorm_mode_32 3
		.amdhsa_float_denorm_mode_16_64 3
		.amdhsa_dx10_clamp 1
		.amdhsa_ieee_mode 1
		.amdhsa_fp16_overflow 0
		.amdhsa_exception_fp_ieee_invalid_op 0
		.amdhsa_exception_fp_denorm_src 0
		.amdhsa_exception_fp_ieee_div_zero 0
		.amdhsa_exception_fp_ieee_overflow 0
		.amdhsa_exception_fp_ieee_underflow 0
		.amdhsa_exception_fp_ieee_inexact 0
		.amdhsa_exception_int_div_zero 0
	.end_amdhsa_kernel
	.text
.Lfunc_end0:
	.size	_Z11bucketcountPKfPiPjS0_i, .Lfunc_end0-_Z11bucketcountPKfPiPjS0_i
                                        ; -- End function
	.set _Z11bucketcountPKfPiPjS0_i.num_vgpr, 24
	.set _Z11bucketcountPKfPiPjS0_i.num_agpr, 0
	.set _Z11bucketcountPKfPiPjS0_i.numbered_sgpr, 23
	.set _Z11bucketcountPKfPiPjS0_i.num_named_barrier, 0
	.set _Z11bucketcountPKfPiPjS0_i.private_seg_size, 0
	.set _Z11bucketcountPKfPiPjS0_i.uses_vcc, 1
	.set _Z11bucketcountPKfPiPjS0_i.uses_flat_scratch, 0
	.set _Z11bucketcountPKfPiPjS0_i.has_dyn_sized_stack, 0
	.set _Z11bucketcountPKfPiPjS0_i.has_recursion, 0
	.set _Z11bucketcountPKfPiPjS0_i.has_indirect_call, 0
	.section	.AMDGPU.csdata,"",@progbits
; Kernel info:
; codeLenInByte = 840
; TotalNumSgprs: 27
; NumVgprs: 24
; ScratchSize: 0
; MemoryBound: 0
; FloatMode: 240
; IeeeMode: 1
; LDSByteSize: 4096 bytes/workgroup (compile time only)
; SGPRBlocks: 8
; VGPRBlocks: 7
; NumSGPRsForWavesPerEU: 65
; NumVGPRsForWavesPerEU: 29
; Occupancy: 8
; WaveLimiterHint : 0
; COMPUTE_PGM_RSRC2:SCRATCH_EN: 0
; COMPUTE_PGM_RSRC2:USER_SGPR: 6
; COMPUTE_PGM_RSRC2:TRAP_HANDLER: 0
; COMPUTE_PGM_RSRC2:TGID_X_EN: 1
; COMPUTE_PGM_RSRC2:TGID_Y_EN: 0
; COMPUTE_PGM_RSRC2:TGID_Z_EN: 0
; COMPUTE_PGM_RSRC2:TIDIG_COMP_CNT: 0
	.text
	.protected	_Z12bucketprefixPjS_i   ; -- Begin function _Z12bucketprefixPjS_i
	.globl	_Z12bucketprefixPjS_i
	.p2align	8
	.type	_Z12bucketprefixPjS_i,@function
_Z12bucketprefixPjS_i:                  ; @_Z12bucketprefixPjS_i
; %bb.0:
	s_load_dword s0, s[4:5], 0x24
	s_load_dword s1, s[4:5], 0x10
	s_waitcnt lgkmcnt(0)
	s_and_b32 s0, s0, 0xffff
	s_mul_i32 s6, s6, s0
	s_lshl_b32 s8, s1, 10
	v_add_u32_e32 v2, s6, v0
	v_cmp_le_i32_e32 vcc, s8, v2
	v_ashrrev_i32_e32 v3, 31, v2
                                        ; implicit-def: $vgpr0_vgpr1
	s_and_saveexec_b64 s[0:1], vcc
	s_xor_b64 s[0:1], exec, s[0:1]
; %bb.1:
	v_mov_b32_e32 v0, v2
	v_mov_b32_e32 v1, v3
                                        ; implicit-def: $vgpr2
; %bb.2:
	s_or_saveexec_b64 s[6:7], s[0:1]
	s_load_dwordx4 s[0:3], s[4:5], 0x0
	v_mov_b32_e32 v5, 0
	s_xor_b64 exec, exec, s[6:7]
	s_cbranch_execz .LBB1_6
; %bb.3:
	v_mov_b32_e32 v0, v2
	v_mov_b32_e32 v1, v3
	v_lshlrev_b64 v[3:4], 2, v[2:3]
	s_waitcnt lgkmcnt(0)
	v_mov_b32_e32 v5, s1
	v_add_co_u32_e32 v3, vcc, s0, v3
	v_addc_co_u32_e32 v4, vcc, v5, v4, vcc
	v_mov_b32_e32 v5, 0
	s_mov_b64 s[0:1], 0
.LBB1_4:                                ; =>This Inner Loop Header: Depth=1
	global_load_dword v6, v[3:4], off
	v_add_u32_e32 v2, 0x400, v2
	global_store_dword v[3:4], v5, off
	v_add_co_u32_e32 v3, vcc, 0x1000, v3
	v_addc_co_u32_e32 v4, vcc, 0, v4, vcc
	v_cmp_le_i32_e32 vcc, s8, v2
	s_or_b64 s[0:1], vcc, s[0:1]
	s_waitcnt vmcnt(1)
	v_add_u32_e32 v5, v6, v5
	s_andn2_b64 exec, exec, s[0:1]
	s_cbranch_execnz .LBB1_4
; %bb.5:
	s_or_b64 exec, exec, s[0:1]
.LBB1_6:
	s_or_b64 exec, exec, s[6:7]
	v_lshlrev_b64 v[0:1], 2, v[0:1]
	s_waitcnt lgkmcnt(0)
	v_mov_b32_e32 v2, s3
	v_add_co_u32_e32 v0, vcc, s2, v0
	v_addc_co_u32_e32 v1, vcc, v2, v1, vcc
	global_store_dword v[0:1], v5, off
	s_endpgm
	.section	.rodata,"a",@progbits
	.p2align	6, 0x0
	.amdhsa_kernel _Z12bucketprefixPjS_i
		.amdhsa_group_segment_fixed_size 0
		.amdhsa_private_segment_fixed_size 0
		.amdhsa_kernarg_size 280
		.amdhsa_user_sgpr_count 6
		.amdhsa_user_sgpr_private_segment_buffer 1
		.amdhsa_user_sgpr_dispatch_ptr 0
		.amdhsa_user_sgpr_queue_ptr 0
		.amdhsa_user_sgpr_kernarg_segment_ptr 1
		.amdhsa_user_sgpr_dispatch_id 0
		.amdhsa_user_sgpr_flat_scratch_init 0
		.amdhsa_user_sgpr_private_segment_size 0
		.amdhsa_uses_dynamic_stack 0
		.amdhsa_system_sgpr_private_segment_wavefront_offset 0
		.amdhsa_system_sgpr_workgroup_id_x 1
		.amdhsa_system_sgpr_workgroup_id_y 0
		.amdhsa_system_sgpr_workgroup_id_z 0
		.amdhsa_system_sgpr_workgroup_info 0
		.amdhsa_system_vgpr_workitem_id 0
		.amdhsa_next_free_vgpr 7
		.amdhsa_next_free_sgpr 9
		.amdhsa_reserve_vcc 1
		.amdhsa_reserve_flat_scratch 0
		.amdhsa_float_round_mode_32 0
		.amdhsa_float_round_mode_16_64 0
		.amdhsa_float_denorm_mode_32 3
		.amdhsa_float_denorm_mode_16_64 3
		.amdhsa_dx10_clamp 1
		.amdhsa_ieee_mode 1
		.amdhsa_fp16_overflow 0
		.amdhsa_exception_fp_ieee_invalid_op 0
		.amdhsa_exception_fp_denorm_src 0
		.amdhsa_exception_fp_ieee_div_zero 0
		.amdhsa_exception_fp_ieee_overflow 0
		.amdhsa_exception_fp_ieee_underflow 0
		.amdhsa_exception_fp_ieee_inexact 0
		.amdhsa_exception_int_div_zero 0
	.end_amdhsa_kernel
	.text
.Lfunc_end1:
	.size	_Z12bucketprefixPjS_i, .Lfunc_end1-_Z12bucketprefixPjS_i
                                        ; -- End function
	.set _Z12bucketprefixPjS_i.num_vgpr, 7
	.set _Z12bucketprefixPjS_i.num_agpr, 0
	.set _Z12bucketprefixPjS_i.numbered_sgpr, 9
	.set _Z12bucketprefixPjS_i.num_named_barrier, 0
	.set _Z12bucketprefixPjS_i.private_seg_size, 0
	.set _Z12bucketprefixPjS_i.uses_vcc, 1
	.set _Z12bucketprefixPjS_i.uses_flat_scratch, 0
	.set _Z12bucketprefixPjS_i.has_dyn_sized_stack, 0
	.set _Z12bucketprefixPjS_i.has_recursion, 0
	.set _Z12bucketprefixPjS_i.has_indirect_call, 0
	.section	.AMDGPU.csdata,"",@progbits
; Kernel info:
; codeLenInByte = 232
; TotalNumSgprs: 13
; NumVgprs: 7
; ScratchSize: 0
; MemoryBound: 0
; FloatMode: 240
; IeeeMode: 1
; LDSByteSize: 0 bytes/workgroup (compile time only)
; SGPRBlocks: 1
; VGPRBlocks: 1
; NumSGPRsForWavesPerEU: 13
; NumVGPRsForWavesPerEU: 7
; Occupancy: 10
; WaveLimiterHint : 0
; COMPUTE_PGM_RSRC2:SCRATCH_EN: 0
; COMPUTE_PGM_RSRC2:USER_SGPR: 6
; COMPUTE_PGM_RSRC2:TRAP_HANDLER: 0
; COMPUTE_PGM_RSRC2:TGID_X_EN: 1
; COMPUTE_PGM_RSRC2:TGID_Y_EN: 0
; COMPUTE_PGM_RSRC2:TGID_Z_EN: 0
; COMPUTE_PGM_RSRC2:TIDIG_COMP_CNT: 0
	.text
	.protected	_Z10bucketsortPKfPKiPfPKjS5_i ; -- Begin function _Z10bucketsortPKfPKiPfPKjS5_i
	.globl	_Z10bucketsortPKfPKiPfPKjS5_i
	.p2align	8
	.type	_Z10bucketsortPKfPKiPfPKjS5_i,@function
_Z10bucketsortPKfPKiPfPKjS5_i:          ; @_Z10bucketsortPKfPKiPfPKjS5_i
; %bb.0:
	s_load_dword s2, s[4:5], 0x3c
	s_load_dwordx2 s[0:1], s[4:5], 0x20
	s_load_dword s16, s[4:5], 0x30
	s_load_dwordx8 s[8:15], s[4:5], 0x0
	v_mov_b32_e32 v2, 0
	s_waitcnt lgkmcnt(0)
	s_and_b32 s17, s2, 0xffff
	s_lshl_b32 s2, s6, 10
	s_ashr_i32 s3, s2, 31
	s_lshl_b32 s7, s17, 2
	s_lshl_b64 s[2:3], s[2:3], 2
	s_add_u32 s14, s14, s2
	v_lshlrev_b32_e32 v1, 2, v0
	s_addc_u32 s15, s15, s3
	v_mov_b32_e32 v3, v2
	s_mov_b64 s[2:3], 0
	v_mov_b32_e32 v4, s1
	v_mov_b32_e32 v5, s15
	s_movk_i32 s1, 0x3ff
	v_mov_b32_e32 v2, v1
	v_mov_b32_e32 v6, v0
.LBB2_1:                                ; =>This Inner Loop Header: Depth=1
	v_add_co_u32_e32 v7, vcc, s0, v2
	v_addc_co_u32_e32 v8, vcc, v4, v3, vcc
	v_add_co_u32_e32 v9, vcc, s14, v2
	v_addc_co_u32_e32 v10, vcc, v5, v3, vcc
	global_load_dword v11, v[7:8], off
	global_load_dword v12, v[9:10], off
	v_add_co_u32_e32 v2, vcc, s7, v2
	v_add_u32_e32 v6, s17, v6
	v_addc_co_u32_e32 v3, vcc, 0, v3, vcc
	v_cmp_lt_u32_e32 vcc, s1, v6
	s_or_b64 s[2:3], vcc, s[2:3]
	s_waitcnt vmcnt(0)
	v_add_u32_e32 v7, v12, v11
	ds_write_b32 v1, v7
	v_add_u32_e32 v1, s7, v1
	s_andn2_b64 exec, exec, s[2:3]
	s_cbranch_execnz .LBB2_1
; %bb.2:
	s_or_b64 exec, exec, s[2:3]
	s_load_dword s7, s[4:5], 0x28
	s_mul_i32 s6, s6, s17
	v_add_u32_e32 v1, s6, v0
	s_waitcnt lgkmcnt(0)
	s_barrier
	v_cmp_gt_i32_e32 vcc, s7, v1
	s_and_saveexec_b64 s[0:1], vcc
	s_cbranch_execz .LBB2_5
; %bb.3:
	s_mul_i32 s0, s16, s17
	v_ashrrev_i32_e32 v2, 31, v1
	s_ashr_i32 s1, s0, 31
	v_lshlrev_b32_e32 v0, 7, v0
	v_lshlrev_b64 v[2:3], 2, v[1:2]
	s_lshl_b64 s[2:3], s[0:1], 2
	v_and_b32_e32 v0, 0x1f000, v0
	s_mov_b64 s[4:5], 0
	v_mov_b32_e32 v6, s9
	v_mov_b32_e32 v7, s11
	;; [unrolled: 1-line block ×5, first 2 shown]
.LBB2_4:                                ; =>This Inner Loop Header: Depth=1
	v_add_co_u32_e32 v10, vcc, s10, v2
	v_addc_co_u32_e32 v11, vcc, v7, v3, vcc
	global_load_dword v4, v[10:11], off
	v_add_co_u32_e32 v10, vcc, s8, v2
	v_addc_co_u32_e32 v11, vcc, v6, v3, vcc
	global_load_dword v12, v[10:11], off
	v_add_co_u32_e32 v2, vcc, s2, v2
	v_add_u32_e32 v1, s0, v1
	v_addc_co_u32_e32 v3, vcc, v3, v9, vcc
	v_cmp_le_i32_e32 vcc, s7, v1
	s_or_b64 s[4:5], vcc, s[4:5]
	s_waitcnt vmcnt(1)
	v_and_b32_e32 v10, 0x3ff, v4
	v_lshl_add_u32 v10, v10, 2, v0
	ds_read_b32 v10, v10
	v_ashrrev_i32_e32 v4, 10, v4
	s_waitcnt lgkmcnt(0)
	v_add_u32_e32 v4, v10, v4
	v_lshlrev_b64 v[10:11], 2, v[4:5]
	v_add_co_u32_e32 v10, vcc, s12, v10
	v_addc_co_u32_e32 v11, vcc, v8, v11, vcc
	s_waitcnt vmcnt(0)
	global_store_dword v[10:11], v12, off
	s_andn2_b64 exec, exec, s[4:5]
	s_cbranch_execnz .LBB2_4
.LBB2_5:
	s_endpgm
	.section	.rodata,"a",@progbits
	.p2align	6, 0x0
	.amdhsa_kernel _Z10bucketsortPKfPKiPfPKjS5_i
		.amdhsa_group_segment_fixed_size 4096
		.amdhsa_private_segment_fixed_size 0
		.amdhsa_kernarg_size 304
		.amdhsa_user_sgpr_count 6
		.amdhsa_user_sgpr_private_segment_buffer 1
		.amdhsa_user_sgpr_dispatch_ptr 0
		.amdhsa_user_sgpr_queue_ptr 0
		.amdhsa_user_sgpr_kernarg_segment_ptr 1
		.amdhsa_user_sgpr_dispatch_id 0
		.amdhsa_user_sgpr_flat_scratch_init 0
		.amdhsa_user_sgpr_private_segment_size 0
		.amdhsa_uses_dynamic_stack 0
		.amdhsa_system_sgpr_private_segment_wavefront_offset 0
		.amdhsa_system_sgpr_workgroup_id_x 1
		.amdhsa_system_sgpr_workgroup_id_y 0
		.amdhsa_system_sgpr_workgroup_id_z 0
		.amdhsa_system_sgpr_workgroup_info 0
		.amdhsa_system_vgpr_workitem_id 0
		.amdhsa_next_free_vgpr 29
		.amdhsa_next_free_sgpr 61
		.amdhsa_reserve_vcc 1
		.amdhsa_reserve_flat_scratch 0
		.amdhsa_float_round_mode_32 0
		.amdhsa_float_round_mode_16_64 0
		.amdhsa_float_denorm_mode_32 3
		.amdhsa_float_denorm_mode_16_64 3
		.amdhsa_dx10_clamp 1
		.amdhsa_ieee_mode 1
		.amdhsa_fp16_overflow 0
		.amdhsa_exception_fp_ieee_invalid_op 0
		.amdhsa_exception_fp_denorm_src 0
		.amdhsa_exception_fp_ieee_div_zero 0
		.amdhsa_exception_fp_ieee_overflow 0
		.amdhsa_exception_fp_ieee_underflow 0
		.amdhsa_exception_fp_ieee_inexact 0
		.amdhsa_exception_int_div_zero 0
	.end_amdhsa_kernel
	.text
.Lfunc_end2:
	.size	_Z10bucketsortPKfPKiPfPKjS5_i, .Lfunc_end2-_Z10bucketsortPKfPKiPfPKjS5_i
                                        ; -- End function
	.set _Z10bucketsortPKfPKiPfPKjS5_i.num_vgpr, 13
	.set _Z10bucketsortPKfPKiPfPKjS5_i.num_agpr, 0
	.set _Z10bucketsortPKfPKiPfPKjS5_i.numbered_sgpr, 18
	.set _Z10bucketsortPKfPKiPfPKjS5_i.num_named_barrier, 0
	.set _Z10bucketsortPKfPKiPfPKjS5_i.private_seg_size, 0
	.set _Z10bucketsortPKfPKiPfPKjS5_i.uses_vcc, 1
	.set _Z10bucketsortPKfPKiPfPKjS5_i.uses_flat_scratch, 0
	.set _Z10bucketsortPKfPKiPfPKjS5_i.has_dyn_sized_stack, 0
	.set _Z10bucketsortPKfPKiPfPKjS5_i.has_recursion, 0
	.set _Z10bucketsortPKfPKiPfPKjS5_i.has_indirect_call, 0
	.section	.AMDGPU.csdata,"",@progbits
; Kernel info:
; codeLenInByte = 416
; TotalNumSgprs: 22
; NumVgprs: 13
; ScratchSize: 0
; MemoryBound: 0
; FloatMode: 240
; IeeeMode: 1
; LDSByteSize: 4096 bytes/workgroup (compile time only)
; SGPRBlocks: 8
; VGPRBlocks: 7
; NumSGPRsForWavesPerEU: 65
; NumVGPRsForWavesPerEU: 29
; Occupancy: 8
; WaveLimiterHint : 1
; COMPUTE_PGM_RSRC2:SCRATCH_EN: 0
; COMPUTE_PGM_RSRC2:USER_SGPR: 6
; COMPUTE_PGM_RSRC2:TRAP_HANDLER: 0
; COMPUTE_PGM_RSRC2:TGID_X_EN: 1
; COMPUTE_PGM_RSRC2:TGID_Y_EN: 0
; COMPUTE_PGM_RSRC2:TGID_Z_EN: 0
; COMPUTE_PGM_RSRC2:TIDIG_COMP_CNT: 0
	.text
	.protected	_Z13histogram1024PjPKfiff ; -- Begin function _Z13histogram1024PjPKfiff
	.globl	_Z13histogram1024PjPKfiff
	.p2align	8
	.type	_Z13histogram1024PjPKfiff,@function
_Z13histogram1024PjPKfiff:              ; @_Z13histogram1024PjPKfiff
; %bb.0:
	s_load_dword s0, s[4:5], 0x2c
	s_load_dword s7, s[4:5], 0x20
	v_lshlrev_b32_e32 v4, 2, v0
	v_mov_b32_e32 v1, 0
	s_movk_i32 s2, 0xbff
	s_waitcnt lgkmcnt(0)
	s_and_b32 s16, s0, 0xffff
	s_lshl_b32 s17, s16, 2
	s_mov_b64 s[0:1], 0
	v_mov_b32_e32 v2, v4
	v_mov_b32_e32 v3, v0
.LBB3_1:                                ; =>This Inner Loop Header: Depth=1
	v_add_u32_e32 v3, s16, v3
	v_cmp_lt_u32_e32 vcc, s2, v3
	ds_write_b32 v2, v1
	s_or_b64 s[0:1], vcc, s[0:1]
	v_add_u32_e32 v2, s17, v2
	s_andn2_b64 exec, exec, s[0:1]
	s_cbranch_execnz .LBB3_1
; %bb.2:
	s_or_b64 exec, exec, s[0:1]
	s_load_dwordx8 s[8:15], s[4:5], 0x0
	s_mul_i32 s6, s6, s16
	v_add_u32_e32 v1, s6, v0
	s_waitcnt lgkmcnt(0)
	s_barrier
	v_cmp_gt_i32_e32 vcc, s12, v1
	s_and_saveexec_b64 s[2:3], vcc
	s_cbranch_execz .LBB3_5
; %bb.3:
	v_mov_b32_e32 v2, s13
	v_sub_f32_e32 v5, s14, v2
	v_lshlrev_b32_e32 v2, 7, v0
	v_and_b32_e32 v6, 0x1f000, v2
	v_ashrrev_i32_e32 v2, 31, v1
	s_mul_i32 s4, s7, s16
	v_lshlrev_b64 v[2:3], 2, v[1:2]
	s_ashr_i32 s5, s4, 31
	v_mov_b32_e32 v7, s11
	v_add_co_u32_e32 v2, vcc, s10, v2
	s_lshl_b64 s[6:7], s[4:5], 2
	v_addc_co_u32_e32 v3, vcc, v7, v3, vcc
	s_mov_b64 s[10:11], 0
	v_mov_b32_e32 v7, 1
	v_mov_b32_e32 v8, s7
.LBB3_4:                                ; =>This Inner Loop Header: Depth=1
	global_load_dword v9, v[2:3], off
	v_add_u32_e32 v1, s4, v1
	s_waitcnt vmcnt(0)
	v_subrev_f32_e32 v9, s13, v9
	v_div_scale_f32 v10, s[0:1], v5, v5, v9
	v_div_scale_f32 v11, vcc, v9, v5, v9
	v_cmp_le_i32_e64 s[0:1], s12, v1
	s_or_b64 s[10:11], s[0:1], s[10:11]
	v_rcp_f32_e32 v12, v10
	v_fma_f32 v13, -v10, v12, 1.0
	v_fmac_f32_e32 v12, v13, v12
	v_mul_f32_e32 v13, v11, v12
	v_fma_f32 v14, -v10, v13, v11
	v_fmac_f32_e32 v13, v14, v12
	v_fma_f32 v10, -v10, v13, v11
	v_div_fmas_f32 v10, v10, v12, v13
	v_add_co_u32_e32 v2, vcc, s6, v2
	v_addc_co_u32_e32 v3, vcc, v3, v8, vcc
	v_div_fixup_f32 v9, v10, v5, v9
	v_mul_f32_e32 v9, 0x44800000, v9
	v_cvt_u32_f32_e32 v9, v9
	v_and_b32_e32 v9, 0x3ff, v9
	v_lshl_add_u32 v9, v9, 2, v6
	ds_add_u32 v9, v7
	s_andn2_b64 exec, exec, s[10:11]
	s_cbranch_execnz .LBB3_4
.LBB3_5:
	s_or_b64 exec, exec, s[2:3]
	v_lshlrev_b32_e32 v1, 2, v0
	v_mov_b32_e32 v2, s9
	v_add_co_u32_e32 v1, vcc, s8, v1
	v_addc_co_u32_e32 v2, vcc, 0, v2, vcc
	s_mov_b64 s[0:1], 0
	s_movk_i32 s2, 0x3ff
	s_waitcnt lgkmcnt(0)
	s_barrier
.LBB3_6:                                ; =>This Inner Loop Header: Depth=1
	ds_read2st64_b32 v[5:6], v4 offset1:16
	ds_read_b32 v3, v4 offset:8192
	v_add_u32_e32 v0, s16, v0
	v_cmp_lt_u32_e32 vcc, s2, v0
	s_or_b64 s[0:1], vcc, s[0:1]
	s_waitcnt lgkmcnt(1)
	v_and_b32_e32 v5, 0x7ffffff, v5
	v_and_b32_e32 v6, 0x7ffffff, v6
	s_waitcnt lgkmcnt(0)
	v_and_b32_e32 v3, 0x7ffffff, v3
	v_add3_u32 v3, v6, v5, v3
	global_atomic_add v[1:2], v3, off
	v_add_co_u32_e32 v1, vcc, s17, v1
	v_add_u32_e32 v4, s17, v4
	v_addc_co_u32_e32 v2, vcc, 0, v2, vcc
	s_andn2_b64 exec, exec, s[0:1]
	s_cbranch_execnz .LBB3_6
; %bb.7:
	s_endpgm
	.section	.rodata,"a",@progbits
	.p2align	6, 0x0
	.amdhsa_kernel _Z13histogram1024PjPKfiff
		.amdhsa_group_segment_fixed_size 12288
		.amdhsa_private_segment_fixed_size 0
		.amdhsa_kernarg_size 288
		.amdhsa_user_sgpr_count 6
		.amdhsa_user_sgpr_private_segment_buffer 1
		.amdhsa_user_sgpr_dispatch_ptr 0
		.amdhsa_user_sgpr_queue_ptr 0
		.amdhsa_user_sgpr_kernarg_segment_ptr 1
		.amdhsa_user_sgpr_dispatch_id 0
		.amdhsa_user_sgpr_flat_scratch_init 0
		.amdhsa_user_sgpr_private_segment_size 0
		.amdhsa_uses_dynamic_stack 0
		.amdhsa_system_sgpr_private_segment_wavefront_offset 0
		.amdhsa_system_sgpr_workgroup_id_x 1
		.amdhsa_system_sgpr_workgroup_id_y 0
		.amdhsa_system_sgpr_workgroup_id_z 0
		.amdhsa_system_sgpr_workgroup_info 0
		.amdhsa_system_vgpr_workitem_id 0
		.amdhsa_next_free_vgpr 29
		.amdhsa_next_free_sgpr 61
		.amdhsa_reserve_vcc 1
		.amdhsa_reserve_flat_scratch 0
		.amdhsa_float_round_mode_32 0
		.amdhsa_float_round_mode_16_64 0
		.amdhsa_float_denorm_mode_32 3
		.amdhsa_float_denorm_mode_16_64 3
		.amdhsa_dx10_clamp 1
		.amdhsa_ieee_mode 1
		.amdhsa_fp16_overflow 0
		.amdhsa_exception_fp_ieee_invalid_op 0
		.amdhsa_exception_fp_denorm_src 0
		.amdhsa_exception_fp_ieee_div_zero 0
		.amdhsa_exception_fp_ieee_overflow 0
		.amdhsa_exception_fp_ieee_underflow 0
		.amdhsa_exception_fp_ieee_inexact 0
		.amdhsa_exception_int_div_zero 0
	.end_amdhsa_kernel
	.text
.Lfunc_end3:
	.size	_Z13histogram1024PjPKfiff, .Lfunc_end3-_Z13histogram1024PjPKfiff
                                        ; -- End function
	.set _Z13histogram1024PjPKfiff.num_vgpr, 15
	.set _Z13histogram1024PjPKfiff.num_agpr, 0
	.set _Z13histogram1024PjPKfiff.numbered_sgpr, 18
	.set _Z13histogram1024PjPKfiff.num_named_barrier, 0
	.set _Z13histogram1024PjPKfiff.private_seg_size, 0
	.set _Z13histogram1024PjPKfiff.uses_vcc, 1
	.set _Z13histogram1024PjPKfiff.uses_flat_scratch, 0
	.set _Z13histogram1024PjPKfiff.has_dyn_sized_stack, 0
	.set _Z13histogram1024PjPKfiff.has_recursion, 0
	.set _Z13histogram1024PjPKfiff.has_indirect_call, 0
	.section	.AMDGPU.csdata,"",@progbits
; Kernel info:
; codeLenInByte = 488
; TotalNumSgprs: 22
; NumVgprs: 15
; ScratchSize: 0
; MemoryBound: 0
; FloatMode: 240
; IeeeMode: 1
; LDSByteSize: 12288 bytes/workgroup (compile time only)
; SGPRBlocks: 8
; VGPRBlocks: 7
; NumSGPRsForWavesPerEU: 65
; NumVGPRsForWavesPerEU: 29
; Occupancy: 8
; WaveLimiterHint : 0
; COMPUTE_PGM_RSRC2:SCRATCH_EN: 0
; COMPUTE_PGM_RSRC2:USER_SGPR: 6
; COMPUTE_PGM_RSRC2:TRAP_HANDLER: 0
; COMPUTE_PGM_RSRC2:TGID_X_EN: 1
; COMPUTE_PGM_RSRC2:TGID_Y_EN: 0
; COMPUTE_PGM_RSRC2:TGID_Z_EN: 0
; COMPUTE_PGM_RSRC2:TIDIG_COMP_CNT: 0
	.section	.AMDGPU.gpr_maximums,"",@progbits
	.set amdgpu.max_num_vgpr, 0
	.set amdgpu.max_num_agpr, 0
	.set amdgpu.max_num_sgpr, 0
	.section	.AMDGPU.csdata,"",@progbits
	.type	__hip_cuid_1ab1b1c62bae2092,@object ; @__hip_cuid_1ab1b1c62bae2092
	.section	.bss,"aw",@nobits
	.globl	__hip_cuid_1ab1b1c62bae2092
__hip_cuid_1ab1b1c62bae2092:
	.byte	0                               ; 0x0
	.size	__hip_cuid_1ab1b1c62bae2092, 1

	.ident	"AMD clang version 22.0.0git (https://github.com/RadeonOpenCompute/llvm-project roc-7.2.4 26084 f58b06dce1f9c15707c5f808fd002e18c2accf7e)"
	.section	".note.GNU-stack","",@progbits
	.addrsig
	.addrsig_sym __hip_cuid_1ab1b1c62bae2092
	.amdgpu_metadata
---
amdhsa.kernels:
  - .args:
      - .address_space:  global
        .offset:         0
        .size:           8
        .value_kind:     global_buffer
      - .address_space:  global
        .offset:         8
        .size:           8
        .value_kind:     global_buffer
      - .address_space:  global
        .offset:         16
        .size:           8
        .value_kind:     global_buffer
      - .address_space:  global
        .offset:         24
        .size:           8
        .value_kind:     global_buffer
      - .offset:         32
        .size:           4
        .value_kind:     by_value
      - .offset:         40
        .size:           4
        .value_kind:     hidden_block_count_x
      - .offset:         44
        .size:           4
        .value_kind:     hidden_block_count_y
      - .offset:         48
        .size:           4
        .value_kind:     hidden_block_count_z
      - .offset:         52
        .size:           2
        .value_kind:     hidden_group_size_x
      - .offset:         54
        .size:           2
        .value_kind:     hidden_group_size_y
      - .offset:         56
        .size:           2
        .value_kind:     hidden_group_size_z
      - .offset:         58
        .size:           2
        .value_kind:     hidden_remainder_x
      - .offset:         60
        .size:           2
        .value_kind:     hidden_remainder_y
      - .offset:         62
        .size:           2
        .value_kind:     hidden_remainder_z
      - .offset:         80
        .size:           8
        .value_kind:     hidden_global_offset_x
      - .offset:         88
        .size:           8
        .value_kind:     hidden_global_offset_y
      - .offset:         96
        .size:           8
        .value_kind:     hidden_global_offset_z
      - .offset:         104
        .size:           2
        .value_kind:     hidden_grid_dims
    .group_segment_fixed_size: 4096
    .kernarg_segment_align: 8
    .kernarg_segment_size: 296
    .language:       OpenCL C
    .language_version:
      - 2
      - 0
    .max_flat_workgroup_size: 1024
    .name:           _Z11bucketcountPKfPiPjS0_i
    .private_segment_fixed_size: 0
    .sgpr_count:     27
    .sgpr_spill_count: 0
    .symbol:         _Z11bucketcountPKfPiPjS0_i.kd
    .uniform_work_group_size: 1
    .uses_dynamic_stack: false
    .vgpr_count:     24
    .vgpr_spill_count: 0
    .wavefront_size: 64
  - .args:
      - .address_space:  global
        .offset:         0
        .size:           8
        .value_kind:     global_buffer
      - .address_space:  global
        .offset:         8
        .size:           8
        .value_kind:     global_buffer
      - .offset:         16
        .size:           4
        .value_kind:     by_value
      - .offset:         24
        .size:           4
        .value_kind:     hidden_block_count_x
      - .offset:         28
        .size:           4
        .value_kind:     hidden_block_count_y
      - .offset:         32
        .size:           4
        .value_kind:     hidden_block_count_z
      - .offset:         36
        .size:           2
        .value_kind:     hidden_group_size_x
      - .offset:         38
        .size:           2
        .value_kind:     hidden_group_size_y
      - .offset:         40
        .size:           2
        .value_kind:     hidden_group_size_z
      - .offset:         42
        .size:           2
        .value_kind:     hidden_remainder_x
      - .offset:         44
        .size:           2
        .value_kind:     hidden_remainder_y
      - .offset:         46
        .size:           2
        .value_kind:     hidden_remainder_z
      - .offset:         64
        .size:           8
        .value_kind:     hidden_global_offset_x
      - .offset:         72
        .size:           8
        .value_kind:     hidden_global_offset_y
      - .offset:         80
        .size:           8
        .value_kind:     hidden_global_offset_z
      - .offset:         88
        .size:           2
        .value_kind:     hidden_grid_dims
    .group_segment_fixed_size: 0
    .kernarg_segment_align: 8
    .kernarg_segment_size: 280
    .language:       OpenCL C
    .language_version:
      - 2
      - 0
    .max_flat_workgroup_size: 1024
    .name:           _Z12bucketprefixPjS_i
    .private_segment_fixed_size: 0
    .sgpr_count:     13
    .sgpr_spill_count: 0
    .symbol:         _Z12bucketprefixPjS_i.kd
    .uniform_work_group_size: 1
    .uses_dynamic_stack: false
    .vgpr_count:     7
    .vgpr_spill_count: 0
    .wavefront_size: 64
  - .args:
      - .address_space:  global
        .offset:         0
        .size:           8
        .value_kind:     global_buffer
      - .address_space:  global
        .offset:         8
        .size:           8
        .value_kind:     global_buffer
      - .address_space:  global
        .offset:         16
        .size:           8
        .value_kind:     global_buffer
      - .address_space:  global
        .offset:         24
        .size:           8
        .value_kind:     global_buffer
      - .address_space:  global
        .offset:         32
        .size:           8
        .value_kind:     global_buffer
      - .offset:         40
        .size:           4
        .value_kind:     by_value
      - .offset:         48
        .size:           4
        .value_kind:     hidden_block_count_x
      - .offset:         52
        .size:           4
        .value_kind:     hidden_block_count_y
      - .offset:         56
        .size:           4
        .value_kind:     hidden_block_count_z
      - .offset:         60
        .size:           2
        .value_kind:     hidden_group_size_x
      - .offset:         62
        .size:           2
        .value_kind:     hidden_group_size_y
      - .offset:         64
        .size:           2
        .value_kind:     hidden_group_size_z
      - .offset:         66
        .size:           2
        .value_kind:     hidden_remainder_x
      - .offset:         68
        .size:           2
        .value_kind:     hidden_remainder_y
      - .offset:         70
        .size:           2
        .value_kind:     hidden_remainder_z
      - .offset:         88
        .size:           8
        .value_kind:     hidden_global_offset_x
      - .offset:         96
        .size:           8
        .value_kind:     hidden_global_offset_y
      - .offset:         104
        .size:           8
        .value_kind:     hidden_global_offset_z
      - .offset:         112
        .size:           2
        .value_kind:     hidden_grid_dims
    .group_segment_fixed_size: 4096
    .kernarg_segment_align: 8
    .kernarg_segment_size: 304
    .language:       OpenCL C
    .language_version:
      - 2
      - 0
    .max_flat_workgroup_size: 1024
    .name:           _Z10bucketsortPKfPKiPfPKjS5_i
    .private_segment_fixed_size: 0
    .sgpr_count:     22
    .sgpr_spill_count: 0
    .symbol:         _Z10bucketsortPKfPKiPfPKjS5_i.kd
    .uniform_work_group_size: 1
    .uses_dynamic_stack: false
    .vgpr_count:     13
    .vgpr_spill_count: 0
    .wavefront_size: 64
  - .args:
      - .address_space:  global
        .offset:         0
        .size:           8
        .value_kind:     global_buffer
      - .address_space:  global
        .offset:         8
        .size:           8
        .value_kind:     global_buffer
      - .offset:         16
        .size:           4
        .value_kind:     by_value
      - .offset:         20
        .size:           4
        .value_kind:     by_value
      - .offset:         24
        .size:           4
        .value_kind:     by_value
      - .offset:         32
        .size:           4
        .value_kind:     hidden_block_count_x
      - .offset:         36
        .size:           4
        .value_kind:     hidden_block_count_y
      - .offset:         40
        .size:           4
        .value_kind:     hidden_block_count_z
      - .offset:         44
        .size:           2
        .value_kind:     hidden_group_size_x
      - .offset:         46
        .size:           2
        .value_kind:     hidden_group_size_y
      - .offset:         48
        .size:           2
        .value_kind:     hidden_group_size_z
      - .offset:         50
        .size:           2
        .value_kind:     hidden_remainder_x
      - .offset:         52
        .size:           2
        .value_kind:     hidden_remainder_y
      - .offset:         54
        .size:           2
        .value_kind:     hidden_remainder_z
      - .offset:         72
        .size:           8
        .value_kind:     hidden_global_offset_x
      - .offset:         80
        .size:           8
        .value_kind:     hidden_global_offset_y
      - .offset:         88
        .size:           8
        .value_kind:     hidden_global_offset_z
      - .offset:         96
        .size:           2
        .value_kind:     hidden_grid_dims
    .group_segment_fixed_size: 12288
    .kernarg_segment_align: 8
    .kernarg_segment_size: 288
    .language:       OpenCL C
    .language_version:
      - 2
      - 0
    .max_flat_workgroup_size: 1024
    .name:           _Z13histogram1024PjPKfiff
    .private_segment_fixed_size: 0
    .sgpr_count:     22
    .sgpr_spill_count: 0
    .symbol:         _Z13histogram1024PjPKfiff.kd
    .uniform_work_group_size: 1
    .uses_dynamic_stack: false
    .vgpr_count:     15
    .vgpr_spill_count: 0
    .wavefront_size: 64
amdhsa.target:   amdgcn-amd-amdhsa--gfx906
amdhsa.version:
  - 1
  - 2
...

	.end_amdgpu_metadata
